;; amdgpu-corpus repo=ROCm/rocFFT kind=compiled arch=gfx1201 opt=O3
	.text
	.amdgcn_target "amdgcn-amd-amdhsa--gfx1201"
	.amdhsa_code_object_version 6
	.protected	fft_rtc_back_len1280_factors_16_5_16_wgs_80_tpt_80_halfLds_sp_op_CI_CI_unitstride_sbrr_dirReg ; -- Begin function fft_rtc_back_len1280_factors_16_5_16_wgs_80_tpt_80_halfLds_sp_op_CI_CI_unitstride_sbrr_dirReg
	.globl	fft_rtc_back_len1280_factors_16_5_16_wgs_80_tpt_80_halfLds_sp_op_CI_CI_unitstride_sbrr_dirReg
	.p2align	8
	.type	fft_rtc_back_len1280_factors_16_5_16_wgs_80_tpt_80_halfLds_sp_op_CI_CI_unitstride_sbrr_dirReg,@function
fft_rtc_back_len1280_factors_16_5_16_wgs_80_tpt_80_halfLds_sp_op_CI_CI_unitstride_sbrr_dirReg: ; @fft_rtc_back_len1280_factors_16_5_16_wgs_80_tpt_80_halfLds_sp_op_CI_CI_unitstride_sbrr_dirReg
; %bb.0:
	s_clause 0x2
	s_load_b128 s[8:11], s[0:1], 0x0
	s_load_b128 s[4:7], s[0:1], 0x58
	;; [unrolled: 1-line block ×3, first 2 shown]
	v_mul_u32_u24_e32 v1, 0x334, v0
	v_mov_b32_e32 v8, 0
	v_mov_b32_e32 v9, 0
	s_delay_alu instid0(VALU_DEP_3) | instskip(NEXT) | instid1(VALU_DEP_1)
	v_lshrrev_b32_e32 v1, 16, v1
	v_dual_mov_b32 v3, 0 :: v_dual_add_nc_u32 v6, ttmp9, v1
	s_delay_alu instid0(VALU_DEP_1) | instskip(SKIP_2) | instid1(VALU_DEP_1)
	v_mov_b32_e32 v7, v3
	s_wait_kmcnt 0x0
	v_cmp_lt_u64_e64 s2, s[10:11], 2
	s_and_b32 vcc_lo, exec_lo, s2
	s_cbranch_vccnz .LBB0_8
; %bb.1:
	s_load_b64 s[2:3], s[0:1], 0x10
	v_mov_b32_e32 v8, 0
	v_mov_b32_e32 v9, 0
	s_delay_alu instid0(VALU_DEP_2)
	v_mov_b32_e32 v1, v8
	s_add_nc_u64 s[16:17], s[14:15], 8
	s_add_nc_u64 s[18:19], s[12:13], 8
	s_mov_b64 s[20:21], 1
	v_mov_b32_e32 v2, v9
	s_wait_kmcnt 0x0
	s_add_nc_u64 s[22:23], s[2:3], 8
	s_mov_b32 s3, 0
.LBB0_2:                                ; =>This Inner Loop Header: Depth=1
	s_load_b64 s[24:25], s[22:23], 0x0
	s_wait_kmcnt 0x0
	s_delay_alu instid0(VALU_DEP_1) | instskip(NEXT) | instid1(VALU_DEP_1)
	v_or_b32_e32 v4, s25, v7
	v_cmp_ne_u64_e32 vcc_lo, 0, v[3:4]
                                        ; implicit-def: $vgpr4_vgpr5
	s_and_saveexec_b32 s2, vcc_lo
	s_wait_alu 0xfffe
	s_xor_b32 s26, exec_lo, s2
	s_cbranch_execz .LBB0_4
; %bb.3:                                ;   in Loop: Header=BB0_2 Depth=1
	s_cvt_f32_u32 s2, s24
	s_cvt_f32_u32 s27, s25
	s_sub_nc_u64 s[30:31], 0, s[24:25]
	s_wait_alu 0xfffe
	s_delay_alu instid0(SALU_CYCLE_1) | instskip(SKIP_1) | instid1(SALU_CYCLE_2)
	s_fmamk_f32 s2, s27, 0x4f800000, s2
	s_wait_alu 0xfffe
	v_s_rcp_f32 s2, s2
	s_delay_alu instid0(TRANS32_DEP_1) | instskip(SKIP_1) | instid1(SALU_CYCLE_2)
	s_mul_f32 s2, s2, 0x5f7ffffc
	s_wait_alu 0xfffe
	s_mul_f32 s27, s2, 0x2f800000
	s_wait_alu 0xfffe
	s_delay_alu instid0(SALU_CYCLE_2) | instskip(SKIP_1) | instid1(SALU_CYCLE_2)
	s_trunc_f32 s27, s27
	s_wait_alu 0xfffe
	s_fmamk_f32 s2, s27, 0xcf800000, s2
	s_cvt_u32_f32 s29, s27
	s_wait_alu 0xfffe
	s_delay_alu instid0(SALU_CYCLE_1) | instskip(SKIP_1) | instid1(SALU_CYCLE_2)
	s_cvt_u32_f32 s28, s2
	s_wait_alu 0xfffe
	s_mul_u64 s[34:35], s[30:31], s[28:29]
	s_wait_alu 0xfffe
	s_mul_hi_u32 s37, s28, s35
	s_mul_i32 s36, s28, s35
	s_mul_hi_u32 s2, s28, s34
	s_mul_i32 s33, s29, s34
	s_wait_alu 0xfffe
	s_add_nc_u64 s[36:37], s[2:3], s[36:37]
	s_mul_hi_u32 s27, s29, s34
	s_mul_hi_u32 s38, s29, s35
	s_add_co_u32 s2, s36, s33
	s_wait_alu 0xfffe
	s_add_co_ci_u32 s2, s37, s27
	s_mul_i32 s34, s29, s35
	s_add_co_ci_u32 s35, s38, 0
	s_wait_alu 0xfffe
	s_add_nc_u64 s[34:35], s[2:3], s[34:35]
	s_wait_alu 0xfffe
	v_add_co_u32 v4, s2, s28, s34
	s_delay_alu instid0(VALU_DEP_1) | instskip(SKIP_1) | instid1(VALU_DEP_1)
	s_cmp_lg_u32 s2, 0
	s_add_co_ci_u32 s29, s29, s35
	v_readfirstlane_b32 s28, v4
	s_wait_alu 0xfffe
	s_delay_alu instid0(VALU_DEP_1)
	s_mul_u64 s[30:31], s[30:31], s[28:29]
	s_wait_alu 0xfffe
	s_mul_hi_u32 s35, s28, s31
	s_mul_i32 s34, s28, s31
	s_mul_hi_u32 s2, s28, s30
	s_mul_i32 s33, s29, s30
	s_wait_alu 0xfffe
	s_add_nc_u64 s[34:35], s[2:3], s[34:35]
	s_mul_hi_u32 s27, s29, s30
	s_mul_hi_u32 s28, s29, s31
	s_wait_alu 0xfffe
	s_add_co_u32 s2, s34, s33
	s_add_co_ci_u32 s2, s35, s27
	s_mul_i32 s30, s29, s31
	s_add_co_ci_u32 s31, s28, 0
	s_wait_alu 0xfffe
	s_add_nc_u64 s[30:31], s[2:3], s[30:31]
	s_wait_alu 0xfffe
	v_add_co_u32 v10, s2, v4, s30
	s_delay_alu instid0(VALU_DEP_1) | instskip(SKIP_1) | instid1(VALU_DEP_1)
	s_cmp_lg_u32 s2, 0
	s_add_co_ci_u32 s2, s29, s31
	v_mul_hi_u32 v14, v6, v10
	s_wait_alu 0xfffe
	v_mad_co_u64_u32 v[4:5], null, v6, s2, 0
	v_mad_co_u64_u32 v[10:11], null, v7, v10, 0
	;; [unrolled: 1-line block ×3, first 2 shown]
	s_delay_alu instid0(VALU_DEP_3) | instskip(SKIP_1) | instid1(VALU_DEP_4)
	v_add_co_u32 v4, vcc_lo, v14, v4
	s_wait_alu 0xfffd
	v_add_co_ci_u32_e32 v5, vcc_lo, 0, v5, vcc_lo
	s_delay_alu instid0(VALU_DEP_2) | instskip(SKIP_1) | instid1(VALU_DEP_2)
	v_add_co_u32 v4, vcc_lo, v4, v10
	s_wait_alu 0xfffd
	v_add_co_ci_u32_e32 v4, vcc_lo, v5, v11, vcc_lo
	s_wait_alu 0xfffd
	v_add_co_ci_u32_e32 v5, vcc_lo, 0, v13, vcc_lo
	s_delay_alu instid0(VALU_DEP_2) | instskip(SKIP_1) | instid1(VALU_DEP_2)
	v_add_co_u32 v10, vcc_lo, v4, v12
	s_wait_alu 0xfffd
	v_add_co_ci_u32_e32 v11, vcc_lo, 0, v5, vcc_lo
	s_delay_alu instid0(VALU_DEP_2) | instskip(SKIP_1) | instid1(VALU_DEP_3)
	v_mul_lo_u32 v12, s25, v10
	v_mad_co_u64_u32 v[4:5], null, s24, v10, 0
	v_mul_lo_u32 v13, s24, v11
	s_delay_alu instid0(VALU_DEP_2) | instskip(NEXT) | instid1(VALU_DEP_2)
	v_sub_co_u32 v4, vcc_lo, v6, v4
	v_add3_u32 v5, v5, v13, v12
	s_delay_alu instid0(VALU_DEP_1) | instskip(SKIP_1) | instid1(VALU_DEP_1)
	v_sub_nc_u32_e32 v12, v7, v5
	s_wait_alu 0xfffd
	v_subrev_co_ci_u32_e64 v12, s2, s25, v12, vcc_lo
	v_add_co_u32 v13, s2, v10, 2
	s_wait_alu 0xf1ff
	v_add_co_ci_u32_e64 v14, s2, 0, v11, s2
	v_sub_co_u32 v15, s2, v4, s24
	v_sub_co_ci_u32_e32 v5, vcc_lo, v7, v5, vcc_lo
	s_wait_alu 0xf1ff
	v_subrev_co_ci_u32_e64 v12, s2, 0, v12, s2
	s_delay_alu instid0(VALU_DEP_3) | instskip(NEXT) | instid1(VALU_DEP_3)
	v_cmp_le_u32_e32 vcc_lo, s24, v15
	v_cmp_eq_u32_e64 s2, s25, v5
	s_wait_alu 0xfffd
	v_cndmask_b32_e64 v15, 0, -1, vcc_lo
	v_cmp_le_u32_e32 vcc_lo, s25, v12
	s_wait_alu 0xfffd
	v_cndmask_b32_e64 v16, 0, -1, vcc_lo
	v_cmp_le_u32_e32 vcc_lo, s24, v4
	;; [unrolled: 3-line block ×3, first 2 shown]
	s_wait_alu 0xfffd
	v_cndmask_b32_e64 v17, 0, -1, vcc_lo
	v_cmp_eq_u32_e32 vcc_lo, s25, v12
	s_wait_alu 0xf1ff
	s_delay_alu instid0(VALU_DEP_2)
	v_cndmask_b32_e64 v4, v17, v4, s2
	s_wait_alu 0xfffd
	v_cndmask_b32_e32 v12, v16, v15, vcc_lo
	v_add_co_u32 v15, vcc_lo, v10, 1
	s_wait_alu 0xfffd
	v_add_co_ci_u32_e32 v16, vcc_lo, 0, v11, vcc_lo
	s_delay_alu instid0(VALU_DEP_3) | instskip(SKIP_1) | instid1(VALU_DEP_2)
	v_cmp_ne_u32_e32 vcc_lo, 0, v12
	s_wait_alu 0xfffd
	v_dual_cndmask_b32 v5, v16, v14 :: v_dual_cndmask_b32 v12, v15, v13
	v_cmp_ne_u32_e32 vcc_lo, 0, v4
	s_wait_alu 0xfffd
	s_delay_alu instid0(VALU_DEP_2)
	v_dual_cndmask_b32 v5, v11, v5 :: v_dual_cndmask_b32 v4, v10, v12
.LBB0_4:                                ;   in Loop: Header=BB0_2 Depth=1
	s_wait_alu 0xfffe
	s_and_not1_saveexec_b32 s2, s26
	s_cbranch_execz .LBB0_6
; %bb.5:                                ;   in Loop: Header=BB0_2 Depth=1
	v_cvt_f32_u32_e32 v4, s24
	s_sub_co_i32 s26, 0, s24
	s_delay_alu instid0(VALU_DEP_1) | instskip(NEXT) | instid1(TRANS32_DEP_1)
	v_rcp_iflag_f32_e32 v4, v4
	v_mul_f32_e32 v4, 0x4f7ffffe, v4
	s_delay_alu instid0(VALU_DEP_1) | instskip(SKIP_1) | instid1(VALU_DEP_1)
	v_cvt_u32_f32_e32 v4, v4
	s_wait_alu 0xfffe
	v_mul_lo_u32 v5, s26, v4
	s_delay_alu instid0(VALU_DEP_1) | instskip(NEXT) | instid1(VALU_DEP_1)
	v_mul_hi_u32 v5, v4, v5
	v_add_nc_u32_e32 v4, v4, v5
	s_delay_alu instid0(VALU_DEP_1) | instskip(NEXT) | instid1(VALU_DEP_1)
	v_mul_hi_u32 v4, v6, v4
	v_mul_lo_u32 v5, v4, s24
	v_add_nc_u32_e32 v10, 1, v4
	s_delay_alu instid0(VALU_DEP_2) | instskip(NEXT) | instid1(VALU_DEP_1)
	v_sub_nc_u32_e32 v5, v6, v5
	v_subrev_nc_u32_e32 v11, s24, v5
	v_cmp_le_u32_e32 vcc_lo, s24, v5
	s_wait_alu 0xfffd
	s_delay_alu instid0(VALU_DEP_2) | instskip(NEXT) | instid1(VALU_DEP_1)
	v_dual_cndmask_b32 v5, v5, v11 :: v_dual_cndmask_b32 v4, v4, v10
	v_cmp_le_u32_e32 vcc_lo, s24, v5
	s_delay_alu instid0(VALU_DEP_2) | instskip(SKIP_1) | instid1(VALU_DEP_1)
	v_dual_mov_b32 v5, v3 :: v_dual_add_nc_u32 v10, 1, v4
	s_wait_alu 0xfffd
	v_cndmask_b32_e32 v4, v4, v10, vcc_lo
.LBB0_6:                                ;   in Loop: Header=BB0_2 Depth=1
	s_wait_alu 0xfffe
	s_or_b32 exec_lo, exec_lo, s2
	v_mul_lo_u32 v12, v5, s24
	s_delay_alu instid0(VALU_DEP_2)
	v_mul_lo_u32 v13, v4, s25
	s_load_b64 s[26:27], s[18:19], 0x0
	v_mad_co_u64_u32 v[10:11], null, v4, s24, 0
	s_load_b64 s[24:25], s[16:17], 0x0
	s_add_nc_u64 s[20:21], s[20:21], 1
	s_add_nc_u64 s[16:17], s[16:17], 8
	s_wait_alu 0xfffe
	v_cmp_ge_u64_e64 s2, s[20:21], s[10:11]
	s_add_nc_u64 s[18:19], s[18:19], 8
	s_add_nc_u64 s[22:23], s[22:23], 8
	v_add3_u32 v11, v11, v13, v12
	v_sub_co_u32 v6, vcc_lo, v6, v10
	s_wait_alu 0xfffd
	s_delay_alu instid0(VALU_DEP_2) | instskip(SKIP_2) | instid1(VALU_DEP_1)
	v_sub_co_ci_u32_e32 v7, vcc_lo, v7, v11, vcc_lo
	s_and_b32 vcc_lo, exec_lo, s2
	s_wait_kmcnt 0x0
	v_mul_lo_u32 v10, s26, v7
	v_mul_lo_u32 v11, s27, v6
	v_mad_co_u64_u32 v[8:9], null, s26, v6, v[8:9]
	v_mul_lo_u32 v7, s24, v7
	v_mul_lo_u32 v12, s25, v6
	v_mad_co_u64_u32 v[1:2], null, s24, v6, v[1:2]
	s_delay_alu instid0(VALU_DEP_4) | instskip(NEXT) | instid1(VALU_DEP_2)
	v_add3_u32 v9, v11, v9, v10
	v_add3_u32 v2, v12, v2, v7
	s_wait_alu 0xfffe
	s_cbranch_vccnz .LBB0_9
; %bb.7:                                ;   in Loop: Header=BB0_2 Depth=1
	v_dual_mov_b32 v7, v5 :: v_dual_mov_b32 v6, v4
	s_branch .LBB0_2
.LBB0_8:
	v_dual_mov_b32 v1, v8 :: v_dual_mov_b32 v2, v9
	v_dual_mov_b32 v4, v6 :: v_dual_mov_b32 v5, v7
.LBB0_9:
	s_load_b64 s[0:1], s[0:1], 0x28
	v_mul_hi_u32 v23, 0x3333334, v0
	s_lshl_b64 s[10:11], s[10:11], 3
                                        ; implicit-def: $sgpr2_sgpr3
                                        ; implicit-def: $sgpr16
                                        ; implicit-def: $vgpr45
	s_wait_kmcnt 0x0
	v_cmp_gt_u64_e32 vcc_lo, s[0:1], v[4:5]
	v_cmp_le_u64_e64 s0, s[0:1], v[4:5]
	s_delay_alu instid0(VALU_DEP_1)
	s_and_saveexec_b32 s1, s0
	s_wait_alu 0xfffe
	s_xor_b32 s0, exec_lo, s1
; %bb.10:
	v_mul_u32_u24_e32 v3, 0x50, v23
	s_mov_b32 s16, 0
	s_mov_b64 s[2:3], 0
                                        ; implicit-def: $vgpr23
                                        ; implicit-def: $vgpr8_vgpr9
	s_delay_alu instid0(VALU_DEP_1)
	v_sub_nc_u32_e32 v45, v0, v3
                                        ; implicit-def: $vgpr0
; %bb.11:
	s_wait_alu 0xfffe
	s_or_saveexec_b32 s1, s0
	v_dual_mov_b32 v31, s3 :: v_dual_mov_b32 v20, s3
	v_dual_mov_b32 v19, s2 :: v_dual_mov_b32 v22, s3
	;; [unrolled: 1-line block ×8, first 2 shown]
	v_mov_b32_e32 v13, s2
	s_add_nc_u64 s[2:3], s[14:15], s[10:11]
                                        ; implicit-def: $vgpr10
                                        ; implicit-def: $vgpr26
                                        ; implicit-def: $vgpr35
                                        ; implicit-def: $vgpr24
                                        ; implicit-def: $vgpr39
                                        ; implicit-def: $vgpr33
                                        ; implicit-def: $vgpr37
                                        ; implicit-def: $vgpr28
	s_wait_alu 0xfffe
	s_xor_b32 exec_lo, exec_lo, s1
	s_cbranch_execz .LBB0_13
; %bb.12:
	s_add_nc_u64 s[10:11], s[12:13], s[10:11]
	v_lshlrev_b64_e32 v[8:9], 3, v[8:9]
	s_load_b64 s[10:11], s[10:11], 0x0
	s_wait_kmcnt 0x0
	v_mul_lo_u32 v3, s11, v4
	v_mul_lo_u32 v10, s10, v5
	v_mad_co_u64_u32 v[6:7], null, s10, v4, 0
	s_delay_alu instid0(VALU_DEP_1) | instskip(SKIP_1) | instid1(VALU_DEP_2)
	v_add3_u32 v7, v7, v10, v3
	v_mul_u32_u24_e32 v3, 0x50, v23
	v_lshlrev_b64_e32 v[6:7], 3, v[6:7]
	s_delay_alu instid0(VALU_DEP_2) | instskip(NEXT) | instid1(VALU_DEP_2)
	v_sub_nc_u32_e32 v45, v0, v3
	v_add_co_u32 v0, s0, s4, v6
	s_wait_alu 0xf1ff
	s_delay_alu instid0(VALU_DEP_3) | instskip(NEXT) | instid1(VALU_DEP_3)
	v_add_co_ci_u32_e64 v3, s0, s5, v7, s0
	v_lshlrev_b32_e32 v6, 3, v45
	s_delay_alu instid0(VALU_DEP_3) | instskip(SKIP_1) | instid1(VALU_DEP_3)
	v_add_co_u32 v0, s0, v0, v8
	s_wait_alu 0xf1ff
	v_add_co_ci_u32_e64 v3, s0, v3, v9, s0
	s_delay_alu instid0(VALU_DEP_2) | instskip(SKIP_1) | instid1(VALU_DEP_2)
	v_add_co_u32 v27, s0, v0, v6
	s_wait_alu 0xf1ff
	v_add_co_ci_u32_e64 v28, s0, 0, v3, s0
	v_mov_b32_e32 v3, v45
	s_clause 0xf
	global_load_b64 v[6:7], v[27:28], off
	global_load_b64 v[15:16], v[27:28], off offset:640
	global_load_b64 v[19:20], v[27:28], off offset:1280
	;; [unrolled: 1-line block ×15, first 2 shown]
.LBB0_13:
	s_or_b32 exec_lo, exec_lo, s1
	s_wait_loadcnt 0x3
	v_dual_sub_f32 v0, v6, v9 :: v_dual_sub_f32 v9, v31, v39
	v_dual_sub_f32 v8, v30, v38 :: v_dual_sub_f32 v35, v20, v35
	s_wait_loadcnt 0x1
	v_dual_sub_f32 v29, v19, v34 :: v_dual_sub_f32 v36, v21, v36
	s_delay_alu instid0(VALU_DEP_3) | instskip(NEXT) | instid1(VALU_DEP_3)
	v_fma_f32 v34, v6, 2.0, -v0
	v_fma_f32 v30, v30, 2.0, -v8
	v_sub_f32_e32 v37, v22, v37
	s_delay_alu instid0(VALU_DEP_4)
	v_fma_f32 v19, v19, 2.0, -v29
	v_fma_f32 v6, v20, 2.0, -v35
	;; [unrolled: 1-line block ×3, first 2 shown]
	v_dual_sub_f32 v21, v15, v25 :: v_dual_sub_f32 v24, v12, v24
	s_wait_loadcnt 0x0
	v_dual_sub_f32 v25, v16, v26 :: v_dual_sub_f32 v28, v14, v28
	v_dual_sub_f32 v26, v17, v32 :: v_dual_sub_f32 v33, v18, v33
	v_sub_f32_e32 v32, v19, v20
	v_fma_f32 v22, v22, 2.0, -v37
	v_fma_f32 v15, v15, 2.0, -v21
	v_dual_sub_f32 v23, v11, v23 :: v_dual_sub_f32 v30, v34, v30
	v_fma_f32 v16, v16, 2.0, -v25
	v_fma_f32 v17, v17, 2.0, -v26
	;; [unrolled: 1-line block ×3, first 2 shown]
	v_dual_sub_f32 v27, v13, v27 :: v_dual_add_f32 v38, v0, v9
	v_fma_f32 v39, v34, 2.0, -v30
	v_dual_add_f32 v47, v29, v37 :: v_dual_sub_f32 v34, v6, v22
	s_delay_alu instid0(VALU_DEP_4)
	v_dual_sub_f32 v55, v35, v36 :: v_dual_sub_f32 v18, v16, v18
	v_dual_sub_f32 v17, v15, v17 :: v_dual_sub_f32 v22, v25, v26
	v_add_f32_e32 v20, v21, v33
	v_fma_f32 v11, v11, 2.0, -v23
	v_fma_f32 v12, v12, 2.0, -v24
	;; [unrolled: 1-line block ×8, first 2 shown]
	v_add_f32_e32 v25, v23, v28
	v_fma_f32 v0, v0, 2.0, -v38
	v_fma_f32 v19, v19, 2.0, -v32
	;; [unrolled: 1-line block ×3, first 2 shown]
	v_dual_sub_f32 v13, v11, v13 :: v_dual_sub_f32 v14, v12, v14
	v_fma_f32 v23, v23, 2.0, -v25
	v_fma_f32 v15, v15, 2.0, -v17
	s_delay_alu instid0(VALU_DEP_4) | instskip(NEXT) | instid1(VALU_DEP_4)
	v_dual_fmamk_f32 v26, v29, 0xbf3504f3, v0 :: v_dual_sub_f32 v27, v24, v27
	v_fma_f32 v11, v11, 2.0, -v13
	v_dual_sub_f32 v28, v39, v19 :: v_dual_add_f32 v49, v30, v34
	v_dual_fmamk_f32 v33, v23, 0xbf3504f3, v16 :: v_dual_add_f32 v58, v17, v14
	s_delay_alu instid0(VALU_DEP_4) | instskip(SKIP_1) | instid1(VALU_DEP_4)
	v_fma_f32 v19, v24, 2.0, -v27
	v_dual_fmamk_f32 v41, v27, 0x3f3504f3, v22 :: v_dual_mul_f32 v60, 0x3f3504f3, v56
	v_fma_f32 v30, v30, 2.0, -v49
	v_sub_f32_e32 v36, v15, v11
	v_fma_f32 v63, v17, 2.0, -v58
	s_delay_alu instid0(VALU_DEP_4)
	v_fmac_f32_e32 v41, 0xbf3504f3, v25
	v_fma_f32 v12, v12, 2.0, -v14
	v_fma_f32 v24, v39, 2.0, -v28
	v_dual_fmamk_f32 v37, v19, 0xbf3504f3, v21 :: v_dual_sub_f32 v62, v18, v13
	v_fma_f32 v11, v15, 2.0, -v36
	v_fmamk_f32 v46, v47, 0x3f3504f3, v38
	v_fmamk_f32 v15, v63, 0xbf3504f3, v30
	v_fmamk_f32 v40, v25, 0x3f3504f3, v20
	v_dual_sub_f32 v48, v35, v12 :: v_dual_fmac_f32 v37, 0xbf3504f3, v23
	v_sub_f32_e32 v13, v24, v11
	v_dual_fmac_f32 v46, 0x3f3504f3, v55 :: v_dual_fmamk_f32 v11, v58, 0x3f3504f3, v49
	s_delay_alu instid0(VALU_DEP_4) | instskip(SKIP_1) | instid1(VALU_DEP_3)
	v_fmac_f32_e32 v40, 0x3f3504f3, v27
	v_dual_fmac_f32 v26, 0x3f3504f3, v56 :: v_dual_fmac_f32 v33, 0x3f3504f3, v19
	v_fma_f32 v43, v38, 2.0, -v46
	v_fma_f32 v39, v21, 2.0, -v37
	v_add_f32_e32 v21, v28, v48
	v_fma_f32 v42, v20, 2.0, -v40
	v_fma_f32 v0, v0, 2.0, -v26
	;; [unrolled: 1-line block ×5, first 2 shown]
	v_fmamk_f32 v16, v42, 0xbec3ef15, v43
	v_fmamk_f32 v22, v33, 0x3ec3ef15, v26
	;; [unrolled: 1-line block ×4, first 2 shown]
	v_fmac_f32_e32 v15, 0x3f3504f3, v27
	v_fmac_f32_e32 v16, 0x3f6c835e, v44
	;; [unrolled: 1-line block ×4, first 2 shown]
	v_dual_fmac_f32 v11, 0x3f3504f3, v62 :: v_dual_mul_f32 v56, 0x3f3504f3, v27
	s_delay_alu instid0(VALU_DEP_4) | instskip(SKIP_1) | instid1(VALU_DEP_4)
	v_fma_f32 v20, v43, 2.0, -v16
	v_lshl_add_u32 v43, v45, 6, 0
	v_fma_f32 v18, v0, 2.0, -v14
	v_fmac_f32_e32 v12, 0x3ec3ef15, v41
	v_fma_f32 v17, v24, 2.0, -v13
	v_fma_f32 v19, v30, 2.0, -v15
	v_mad_i32_i24 v0, 0xffffffc4, v45, v43
	v_fma_f32 v23, v28, 2.0, -v21
	v_fma_f32 v24, v26, 2.0, -v22
	;; [unrolled: 1-line block ×4, first 2 shown]
	v_add_nc_u32_e32 v50, 0x800, v0
	v_add_nc_u32_e32 v49, 0x200, v0
	;; [unrolled: 1-line block ×6, first 2 shown]
	s_load_b64 s[2:3], s[2:3], 0x0
	ds_store_2addr_b64 v43, v[17:18], v[19:20] offset1:1
	ds_store_2addr_b64 v43, v[23:24], v[25:26] offset0:2 offset1:3
	ds_store_2addr_b64 v43, v[13:14], v[15:16] offset0:4 offset1:5
	ds_store_2addr_b64 v43, v[21:22], v[11:12] offset0:6 offset1:7
	global_wb scope:SCOPE_SE
	s_wait_dscnt 0x0
	s_wait_kmcnt 0x0
	s_barrier_signal -1
	s_barrier_wait -1
	global_inv scope:SCOPE_SE
	ds_load_2addr_b32 v[15:16], v0 offset1:80
	ds_load_2addr_b32 v[13:14], v49 offset0:32 offset1:128
	ds_load_2addr_b32 v[25:26], v50 offset1:80
	ds_load_2addr_b32 v[17:18], v51 offset0:32 offset1:128
	ds_load_2addr_b32 v[23:24], v52 offset1:80
	ds_load_2addr_b32 v[21:22], v53 offset0:80 offset1:160
	ds_load_2addr_b32 v[19:20], v54 offset0:80 offset1:160
	ds_load_b32 v46, v0 offset:4736
	v_mul_f32_e32 v57, 0x3f3504f3, v29
	v_mul_f32_e32 v59, 0x3f3504f3, v47
	;; [unrolled: 1-line block ×6, first 2 shown]
	v_cmp_gt_u32_e64 s0, 16, v45
                                        ; implicit-def: $vgpr47
                                        ; implicit-def: $vgpr28
                                        ; implicit-def: $vgpr30
	s_delay_alu instid0(VALU_DEP_1)
	s_and_saveexec_b32 s1, s0
	s_cbranch_execz .LBB0_15
; %bb.14:
	v_add_nc_u32_e32 v12, 0xc0, v0
	ds_load_2addr_stride64_b32 v[29:30], v12 offset0:3 offset1:7
	ds_load_2addr_stride64_b32 v[27:28], v12 offset0:11 offset1:15
	ds_load_b32 v47, v0 offset:5056
	s_wait_dscnt 0x2
	v_mov_b32_e32 v12, v29
.LBB0_15:
	s_wait_alu 0xfffe
	s_or_b32 exec_lo, exec_lo, s1
	v_sub_f32_e32 v10, v7, v10
	v_fma_f32 v9, v31, 2.0, -v9
	v_fma_f32 v6, v6, 2.0, -v34
	;; [unrolled: 1-line block ×3, first 2 shown]
	global_wb scope:SCOPE_SE
	s_wait_dscnt 0x0
	v_sub_f32_e32 v8, v10, v8
	s_barrier_signal -1
	s_barrier_wait -1
	global_inv scope:SCOPE_SE
	v_add_f32_e32 v29, v8, v61
	v_fma_f32 v7, v7, 2.0, -v10
	s_delay_alu instid0(VALU_DEP_2) | instskip(NEXT) | instid1(VALU_DEP_2)
	v_sub_f32_e32 v29, v29, v59
	v_sub_f32_e32 v9, v7, v9
	v_fma_f32 v10, v10, 2.0, -v8
	s_delay_alu instid0(VALU_DEP_3) | instskip(NEXT) | instid1(VALU_DEP_3)
	v_fma_f32 v61, v8, 2.0, -v29
	v_fma_f32 v31, v7, 2.0, -v9
	s_delay_alu instid0(VALU_DEP_1) | instskip(NEXT) | instid1(VALU_DEP_1)
	v_dual_sub_f32 v48, v9, v32 :: v_dual_sub_f32 v59, v31, v6
	v_dual_sub_f32 v7, v10, v60 :: v_dual_add_f32 v6, v48, v58
	v_fma_f32 v60, v9, 2.0, -v48
	s_delay_alu instid0(VALU_DEP_2) | instskip(NEXT) | instid1(VALU_DEP_2)
	v_dual_sub_f32 v57, v7, v57 :: v_dual_sub_f32 v6, v6, v55
	v_dual_sub_f32 v8, v60, v56 :: v_dual_fmamk_f32 v7, v41, 0x3f6c835e, v29
	v_fma_f32 v41, v31, 2.0, -v59
	s_delay_alu instid0(VALU_DEP_3) | instskip(SKIP_2) | instid1(VALU_DEP_3)
	v_fma_f32 v58, v10, 2.0, -v57
	v_fmamk_f32 v9, v44, 0xbec3ef15, v61
	v_dual_sub_f32 v31, v59, v36 :: v_dual_fmamk_f32 v32, v37, 0x3ec3ef15, v57
	v_dual_sub_f32 v34, v41, v34 :: v_dual_fmamk_f32 v35, v39, 0xbf6c835e, v58
	s_delay_alu instid0(VALU_DEP_3) | instskip(NEXT) | instid1(VALU_DEP_3)
	v_dual_sub_f32 v8, v8, v11 :: v_dual_fmac_f32 v9, 0xbf6c835e, v42
	v_fmac_f32_e32 v32, 0xbf6c835e, v33
	v_fmac_f32_e32 v7, 0xbec3ef15, v40
	s_delay_alu instid0(VALU_DEP_4)
	v_fmac_f32_e32 v35, 0xbec3ef15, v38
	v_fma_f32 v38, v41, 2.0, -v34
	v_fma_f32 v40, v60, 2.0, -v8
	;; [unrolled: 1-line block ×8, first 2 shown]
	ds_store_2addr_b64 v43, v[38:39], v[40:41] offset1:1
	ds_store_2addr_b64 v43, v[10:11], v[36:37] offset0:2 offset1:3
	ds_store_2addr_b64 v43, v[34:35], v[8:9] offset0:4 offset1:5
	;; [unrolled: 1-line block ×3, first 2 shown]
	global_wb scope:SCOPE_SE
	s_wait_dscnt 0x0
	s_barrier_signal -1
	s_barrier_wait -1
	global_inv scope:SCOPE_SE
	ds_load_2addr_b32 v[10:11], v0 offset1:80
	ds_load_2addr_b32 v[8:9], v49 offset0:32 offset1:128
	ds_load_2addr_b32 v[43:44], v50 offset1:80
	ds_load_2addr_b32 v[31:32], v51 offset0:32 offset1:128
	;; [unrolled: 2-line block ×3, first 2 shown]
	ds_load_2addr_b32 v[33:34], v54 offset0:80 offset1:160
	ds_load_b32 v56, v0 offset:4736
                                        ; implicit-def: $vgpr58
                                        ; implicit-def: $vgpr36
                                        ; implicit-def: $vgpr40
	s_and_saveexec_b32 s1, s0
	s_cbranch_execz .LBB0_17
; %bb.16:
	v_add_nc_u32_e32 v6, 0xc0, v0
	ds_load_2addr_stride64_b32 v[39:40], v6 offset0:3 offset1:7
	ds_load_2addr_stride64_b32 v[35:36], v6 offset0:11 offset1:15
	ds_load_b32 v58, v0 offset:5056
	s_wait_dscnt 0x2
	v_mov_b32_e32 v7, v39
.LBB0_17:
	s_wait_alu 0xfffe
	s_or_b32 exec_lo, exec_lo, s1
	v_lshlrev_b32_e32 v6, 5, v45
	v_lshrrev_b32_e32 v48, 4, v45
	s_delay_alu instid0(VALU_DEP_2) | instskip(NEXT) | instid1(VALU_DEP_2)
	v_and_b32_e32 v6, 0x1e0, v6
	v_mul_u32_u24_e32 v48, 0x50, v48
	s_clause 0x3
	global_load_b64 v[68:69], v6, s[8:9]
	global_load_b64 v[70:71], v6, s[8:9] offset:8
	global_load_b64 v[72:73], v6, s[8:9] offset:16
	global_load_b64 v[74:75], v6, s[8:9] offset:24
	v_and_b32_e32 v29, 15, v45
	s_wait_loadcnt_dscnt 0x205
	v_dual_mul_f32 v63, v9, v69 :: v_dual_mul_f32 v64, v43, v71
	s_clause 0x1
	global_load_b64 v[76:77], v6, s[8:9] offset:4
	global_load_b64 v[78:79], v6, s[8:9] offset:12
	v_dual_mul_f32 v84, v25, v71 :: v_dual_lshlrev_b32 v39, 5, v29
	s_clause 0x2
	global_load_b64 v[80:81], v6, s[8:9] offset:20
	global_load_b32 v67, v6, s[8:9] offset:28
	global_load_b32 v82, v39, s[8:9]
	s_wait_dscnt 0x4
	v_dual_mul_f32 v53, v31, v71 :: v_dual_add_nc_u32 v6, 0x50, v45
	s_wait_loadcnt_dscnt 0x503
	v_dual_mul_f32 v66, v41, v75 :: v_dual_add_nc_u32 v39, 0xa0, v45
	v_dual_mul_f32 v83, v14, v69 :: v_dual_mul_f32 v86, v23, v75
	s_delay_alu instid0(VALU_DEP_3) | instskip(NEXT) | instid1(VALU_DEP_3)
	v_lshrrev_b32_e32 v49, 4, v6
	v_lshrrev_b32_e32 v39, 4, v39
	v_dual_mul_f32 v65, v32, v73 :: v_dual_mul_f32 v88, v26, v71
	s_wait_dscnt 0x2
	v_dual_mul_f32 v61, v37, v69 :: v_dual_mul_f32 v62, v42, v75
	v_mul_u32_u24_e32 v49, 0x50, v49
	v_mul_u32_u24_e32 v39, 0x50, v39
	v_mul_f32_e32 v87, v21, v69
	v_mul_f32_e32 v54, v38, v69
	;; [unrolled: 1-line block ×3, first 2 shown]
	v_or_b32_e32 v49, v49, v29
	v_or_b32_e32 v48, v48, v29
	;; [unrolled: 1-line block ×3, first 2 shown]
	v_dual_mul_f32 v85, v18, v73 :: v_dual_mul_f32 v90, v24, v75
	s_delay_alu instid0(VALU_DEP_4)
	v_lshl_add_u32 v39, v49, 2, 0
	s_wait_dscnt 0x1
	v_dual_mul_f32 v59, v44, v71 :: v_dual_mul_f32 v60, v33, v73
	s_wait_dscnt 0x0
	v_mul_f32_e32 v57, v56, v75
	v_mul_f32_e32 v55, v34, v73
	;; [unrolled: 1-line block ×6, first 2 shown]
	v_lshl_add_u32 v6, v45, 2, 0
	v_lshl_add_u32 v48, v48, 2, 0
	;; [unrolled: 1-line block ×3, first 2 shown]
	global_wb scope:SCOPE_SE
	s_wait_loadcnt 0x0
	s_barrier_signal -1
	s_barrier_wait -1
	global_inv scope:SCOPE_SE
	v_dual_mul_f32 v49, v40, v76 :: v_dual_mul_f32 v50, v35, v78
	v_mul_f32_e32 v78, v27, v78
	v_fmac_f32_e32 v66, v23, v81
	v_dual_fmac_f32 v64, v25, v77 :: v_dual_fmac_f32 v65, v18, v79
	s_delay_alu instid0(VALU_DEP_4)
	v_fmac_f32_e32 v50, v27, v70
	v_fmac_f32_e32 v63, v14, v82
	v_mul_f32_e32 v76, v30, v76
	v_dual_mul_f32 v51, v36, v80 :: v_dual_fmac_f32 v60, v19, v79
	v_mul_f32_e32 v80, v28, v80
	v_mul_f32_e32 v52, v58, v67
	v_dual_mul_f32 v91, v47, v67 :: v_dual_fmac_f32 v62, v24, v81
	v_fma_f32 v43, v43, v77, -v84
	v_fma_f32 v32, v32, v79, -v85
	v_fma_f32 v18, v37, v82, -v87
	v_dual_fmac_f32 v59, v26, v77 :: v_dual_fmac_f32 v52, v47, v74
	v_fma_f32 v23, v42, v81, -v90
	v_dual_fmac_f32 v54, v22, v82 :: v_dual_fmac_f32 v53, v17, v77
	v_fma_f32 v27, v35, v70, -v78
	v_dual_add_f32 v22, v64, v65 :: v_dual_fmac_f32 v61, v21, v82
	s_delay_alu instid0(VALU_DEP_4)
	v_dual_add_f32 v35, v63, v66 :: v_dual_sub_f32 v42, v18, v23
	v_fma_f32 v67, v9, v82, -v83
	v_fma_f32 v41, v41, v81, -v86
	;; [unrolled: 1-line block ×4, first 2 shown]
	v_fmac_f32_e32 v55, v20, v79
	v_dual_fmac_f32 v57, v46, v81 :: v_dual_sub_f32 v26, v43, v32
	v_fma_f32 v9, v38, v82, -v69
	v_fma_f32 v14, v31, v77, -v71
	;; [unrolled: 1-line block ×4, first 2 shown]
	v_fmac_f32_e32 v49, v30, v68
	v_fma_f32 v30, v40, v68, -v76
	v_dual_fmac_f32 v51, v28, v72 :: v_dual_sub_f32 v34, v66, v65
	v_fma_f32 v28, v36, v72, -v80
	v_fma_f32 v25, v58, v74, -v91
	v_add_f32_e32 v20, v15, v63
	v_dual_sub_f32 v33, v63, v64 :: v_dual_add_f32 v38, v16, v61
	v_dual_sub_f32 v36, v64, v63 :: v_dual_sub_f32 v37, v65, v66
	v_add_f32_e32 v40, v59, v60
	v_dual_sub_f32 v58, v59, v61 :: v_dual_add_f32 v69, v13, v54
	v_dual_sub_f32 v68, v60, v62 :: v_dual_sub_f32 v71, v9, v31
	v_fma_f32 v22, -0.5, v22, v15
	v_fma_f32 v15, -0.5, v35, v15
	v_dual_add_f32 v56, v61, v62 :: v_dual_add_f32 v75, v54, v57
	v_sub_f32_e32 v24, v67, v41
	v_dual_sub_f32 v44, v21, v19 :: v_dual_sub_f32 v47, v62, v60
	v_dual_sub_f32 v46, v61, v59 :: v_dual_sub_f32 v73, v54, v53
	v_dual_add_f32 v70, v53, v55 :: v_dual_sub_f32 v77, v55, v57
	v_dual_sub_f32 v72, v14, v17 :: v_dual_add_f32 v33, v33, v34
	v_sub_f32_e32 v74, v57, v55
	v_dual_sub_f32 v76, v53, v54 :: v_dual_add_f32 v35, v38, v59
	v_add_f32_e32 v20, v20, v64
	v_add_f32_e32 v38, v58, v68
	v_fmamk_f32 v68, v26, 0x3f737871, v15
	v_dual_fmac_f32 v15, 0xbf737871, v26 :: v_dual_add_f32 v34, v36, v37
	v_fma_f32 v36, -0.5, v40, v16
	v_dual_fmac_f32 v16, -0.5, v56 :: v_dual_add_f32 v37, v46, v47
	v_fma_f32 v46, -0.5, v70, v13
	v_dual_fmac_f32 v13, -0.5, v75 :: v_dual_fmamk_f32 v58, v24, 0xbf737871, v22
	v_dual_add_f32 v40, v69, v53 :: v_dual_add_f32 v35, v35, v60
	v_fmac_f32_e32 v22, 0x3f737871, v24
	v_dual_add_f32 v56, v76, v77 :: v_dual_fmamk_f32 v69, v42, 0xbf737871, v36
	v_add_f32_e32 v20, v20, v65
	v_fmamk_f32 v70, v44, 0x3f737871, v16
	v_dual_fmac_f32 v16, 0xbf737871, v44 :: v_dual_add_f32 v47, v73, v74
	v_fmac_f32_e32 v36, 0x3f737871, v42
	v_fmamk_f32 v73, v71, 0xbf737871, v46
	v_fmac_f32_e32 v46, 0x3f737871, v71
	v_fmamk_f32 v74, v72, 0x3f737871, v13
	v_fmac_f32_e32 v13, 0xbf737871, v72
	s_delay_alu instid0(VALU_DEP_4) | instskip(SKIP_2) | instid1(VALU_DEP_4)
	v_dual_fmac_f32 v58, 0xbf167918, v26 :: v_dual_fmac_f32 v73, 0xbf167918, v72
	v_dual_add_f32 v40, v40, v55 :: v_dual_fmac_f32 v15, 0x3f167918, v24
	v_fmac_f32_e32 v68, 0xbf167918, v24
	v_dual_fmac_f32 v22, 0x3f167918, v26 :: v_dual_fmac_f32 v13, 0x3f167918, v71
	v_dual_add_f32 v20, v20, v66 :: v_dual_fmac_f32 v69, 0xbf167918, v44
	v_fmac_f32_e32 v70, 0xbf167918, v42
	v_fmac_f32_e32 v16, 0x3f167918, v42
	;; [unrolled: 1-line block ×5, first 2 shown]
	v_dual_fmac_f32 v58, 0x3e9e377a, v33 :: v_dual_fmac_f32 v73, 0x3e9e377a, v47
	v_dual_add_f32 v26, v40, v57 :: v_dual_fmac_f32 v15, 0x3e9e377a, v34
	v_fmac_f32_e32 v68, 0x3e9e377a, v34
	v_dual_fmac_f32 v22, 0x3e9e377a, v33 :: v_dual_fmac_f32 v13, 0x3e9e377a, v56
	v_dual_add_f32 v24, v35, v62 :: v_dual_fmac_f32 v69, 0x3e9e377a, v37
	v_fmac_f32_e32 v70, 0x3e9e377a, v38
	v_fmac_f32_e32 v16, 0x3e9e377a, v38
	;; [unrolled: 1-line block ×5, first 2 shown]
	ds_store_2addr_b32 v48, v20, v58 offset1:16
	ds_store_2addr_b32 v48, v68, v15 offset0:32 offset1:48
	ds_store_b32 v48, v22 offset:256
	ds_store_2addr_b32 v39, v24, v69 offset1:16
	ds_store_2addr_b32 v39, v70, v16 offset0:32 offset1:48
	ds_store_b32 v39, v36 offset:256
	;; [unrolled: 3-line block ×3, first 2 shown]
	s_and_saveexec_b32 s1, s0
	s_cbranch_execz .LBB0_19
; %bb.18:
	v_dual_add_f32 v13, v49, v52 :: v_dual_add_f32 v20, v50, v51
	v_dual_sub_f32 v15, v50, v49 :: v_dual_sub_f32 v16, v51, v52
	v_dual_sub_f32 v22, v27, v28 :: v_dual_sub_f32 v33, v52, v51
	s_delay_alu instid0(VALU_DEP_3) | instskip(NEXT) | instid1(VALU_DEP_3)
	v_fma_f32 v13, -0.5, v13, v12
	v_dual_sub_f32 v24, v30, v25 :: v_dual_add_f32 v15, v15, v16
	v_add_f32_e32 v26, v12, v49
	v_fma_f32 v12, -0.5, v20, v12
	s_delay_alu instid0(VALU_DEP_4) | instskip(SKIP_2) | instid1(VALU_DEP_4)
	v_fmamk_f32 v16, v22, 0xbf737871, v13
	v_fmac_f32_e32 v13, 0x3f737871, v22
	v_sub_f32_e32 v20, v49, v50
	v_fmamk_f32 v34, v24, 0x3f737871, v12
	v_fmac_f32_e32 v12, 0xbf737871, v24
	s_delay_alu instid0(VALU_DEP_4) | instskip(NEXT) | instid1(VALU_DEP_4)
	v_dual_fmac_f32 v13, 0xbf167918, v24 :: v_dual_add_f32 v26, v26, v50
	v_add_f32_e32 v20, v20, v33
	v_fmac_f32_e32 v16, 0x3f167918, v24
	s_delay_alu instid0(VALU_DEP_4) | instskip(NEXT) | instid1(VALU_DEP_4)
	v_fmac_f32_e32 v12, 0xbf167918, v22
	v_fmac_f32_e32 v13, 0x3e9e377a, v15
	v_add_f32_e32 v26, v26, v51
	v_fmac_f32_e32 v34, 0x3f167918, v22
	v_add_nc_u32_e32 v24, 0x1000, v6
	v_fmac_f32_e32 v12, 0x3e9e377a, v20
	v_fmac_f32_e32 v16, 0x3e9e377a, v15
	v_add_f32_e32 v22, v26, v52
	v_fmac_f32_e32 v34, 0x3e9e377a, v20
	ds_store_2addr_b32 v24, v22, v12 offset0:176 offset1:192
	ds_store_2addr_b32 v24, v13, v16 offset0:208 offset1:224
	ds_store_b32 v6, v34 offset:5056
.LBB0_19:
	s_wait_alu 0xfffe
	s_or_b32 exec_lo, exec_lo, s1
	v_dual_add_f32 v12, v43, v32 :: v_dual_add_f32 v13, v10, v67
	v_add_f32_e32 v22, v67, v41
	v_dual_sub_f32 v15, v63, v66 :: v_dual_sub_f32 v16, v64, v65
	s_delay_alu instid0(VALU_DEP_3) | instskip(NEXT) | instid1(VALU_DEP_4)
	v_fma_f32 v33, -0.5, v12, v10
	v_add_f32_e32 v13, v13, v43
	s_delay_alu instid0(VALU_DEP_4)
	v_fma_f32 v35, -0.5, v22, v10
	v_sub_f32_e32 v20, v67, v43
	v_sub_f32_e32 v12, v41, v32
	;; [unrolled: 1-line block ×3, first 2 shown]
	v_dual_add_f32 v10, v13, v32 :: v_dual_sub_f32 v13, v32, v41
	v_fmamk_f32 v34, v15, 0x3f737871, v33
	v_fmac_f32_e32 v33, 0xbf737871, v15
	v_sub_f32_e32 v24, v43, v67
	v_fmamk_f32 v32, v16, 0xbf737871, v35
	v_fmac_f32_e32 v35, 0x3f737871, v16
	v_add_f32_e32 v12, v20, v12
	v_fmac_f32_e32 v33, 0xbf167918, v16
	s_delay_alu instid0(VALU_DEP_4) | instskip(NEXT) | instid1(VALU_DEP_4)
	v_dual_add_f32 v13, v24, v13 :: v_dual_fmac_f32 v32, 0x3f167918, v15
	v_fmac_f32_e32 v35, 0xbf167918, v15
	v_dual_add_f32 v15, v18, v23 :: v_dual_fmac_f32 v34, 0x3f167918, v16
	s_delay_alu instid0(VALU_DEP_4)
	v_dual_add_f32 v36, v10, v41 :: v_dual_fmac_f32 v33, 0x3e9e377a, v12
	v_add_f32_e32 v16, v11, v18
	v_sub_f32_e32 v20, v18, v21
	v_dual_add_f32 v10, v21, v19 :: v_dual_fmac_f32 v35, 0x3e9e377a, v13
	global_wb scope:SCOPE_SE
	s_wait_dscnt 0x0
	s_barrier_signal -1
	s_barrier_wait -1
	v_fma_f32 v37, -0.5, v10, v11
	v_dual_fmac_f32 v11, -0.5, v15 :: v_dual_fmac_f32 v34, 0x3e9e377a, v12
	v_dual_add_f32 v12, v16, v21 :: v_dual_sub_f32 v15, v21, v18
	v_dual_sub_f32 v18, v19, v23 :: v_dual_sub_f32 v43, v54, v57
	global_inv scope:SCOPE_SE
	v_add_f32_e32 v12, v12, v19
	s_delay_alu instid0(VALU_DEP_1) | instskip(NEXT) | instid1(VALU_DEP_1)
	v_dual_sub_f32 v10, v61, v62 :: v_dual_add_f32 v41, v12, v23
	v_fmamk_f32 v38, v10, 0x3f737871, v37
	v_fmac_f32_e32 v37, 0xbf737871, v10
	v_dual_add_f32 v12, v15, v18 :: v_dual_add_f32 v15, v8, v9
	v_dual_fmac_f32 v32, 0x3e9e377a, v13 :: v_dual_add_f32 v13, v20, v22
	v_sub_f32_e32 v16, v59, v60
	v_add_nc_u32_e32 v18, 0xc00, v0
	v_add_nc_u32_e32 v22, 0x1000, v0
	s_delay_alu instid0(VALU_DEP_3) | instskip(NEXT) | instid1(VALU_DEP_1)
	v_fmac_f32_e32 v37, 0xbf167918, v16
	v_fmac_f32_e32 v37, 0x3e9e377a, v13
	v_fmamk_f32 v40, v16, 0xbf737871, v11
	v_fmac_f32_e32 v11, 0x3f737871, v16
	v_fmac_f32_e32 v38, 0x3f167918, v16
	v_add_f32_e32 v16, v14, v17
	s_delay_alu instid0(VALU_DEP_4) | instskip(NEXT) | instid1(VALU_DEP_4)
	v_fmac_f32_e32 v40, 0x3f167918, v10
	v_fmac_f32_e32 v11, 0xbf167918, v10
	v_add_f32_e32 v10, v15, v14
	s_delay_alu instid0(VALU_DEP_4) | instskip(NEXT) | instid1(VALU_DEP_2)
	v_fma_f32 v42, -0.5, v16, v8
	v_add_f32_e32 v44, v10, v17
	v_dual_fmac_f32 v38, 0x3e9e377a, v13 :: v_dual_add_f32 v13, v9, v31
	v_sub_f32_e32 v10, v53, v55
	s_delay_alu instid0(VALU_DEP_4) | instskip(SKIP_1) | instid1(VALU_DEP_4)
	v_fmamk_f32 v46, v43, 0x3f737871, v42
	v_fmac_f32_e32 v42, 0xbf737871, v43
	v_fmac_f32_e32 v8, -0.5, v13
	s_delay_alu instid0(VALU_DEP_3) | instskip(NEXT) | instid1(VALU_DEP_3)
	v_dual_sub_f32 v13, v31, v17 :: v_dual_fmac_f32 v46, 0x3f167918, v10
	v_fmac_f32_e32 v42, 0xbf167918, v10
	s_delay_alu instid0(VALU_DEP_3) | instskip(SKIP_1) | instid1(VALU_DEP_2)
	v_fmamk_f32 v47, v10, 0xbf737871, v8
	v_fmac_f32_e32 v8, 0x3f737871, v10
	v_fmac_f32_e32 v47, 0x3f167918, v43
	;; [unrolled: 1-line block ×3, first 2 shown]
	v_dual_fmac_f32 v11, 0x3e9e377a, v12 :: v_dual_sub_f32 v12, v9, v14
	v_dual_sub_f32 v9, v14, v9 :: v_dual_sub_f32 v14, v17, v31
	s_delay_alu instid0(VALU_DEP_2) | instskip(SKIP_1) | instid1(VALU_DEP_3)
	v_dual_fmac_f32 v8, 0xbf167918, v43 :: v_dual_add_f32 v53, v12, v13
	v_add_nc_u32_e32 v12, 0x200, v0
	v_add_f32_e32 v54, v9, v14
	ds_load_2addr_b32 v[9:10], v0 offset1:80
	ds_load_2addr_b32 v[16:17], v12 offset0:32 offset1:192
	v_add_nc_u32_e32 v12, 0x400, v0
	v_add_nc_u32_e32 v13, 0x800, v0
	;; [unrolled: 1-line block ×3, first 2 shown]
	ds_load_2addr_b32 v[20:21], v12 offset0:144 offset1:224
	ds_load_2addr_b32 v[12:13], v13 offset0:48 offset1:128
	;; [unrolled: 1-line block ×5, first 2 shown]
	ds_load_b32 v24, v6 offset:960
	ds_load_b32 v26, v0 offset:4800
	v_fmac_f32_e32 v46, 0x3e9e377a, v53
	v_dual_fmac_f32 v42, 0x3e9e377a, v53 :: v_dual_fmac_f32 v47, 0x3e9e377a, v54
	v_dual_add_f32 v31, v44, v31 :: v_dual_fmac_f32 v8, 0x3e9e377a, v54
	global_wb scope:SCOPE_SE
	s_wait_dscnt 0x0
	s_barrier_signal -1
	s_barrier_wait -1
	global_inv scope:SCOPE_SE
	ds_store_2addr_b32 v48, v36, v34 offset1:16
	ds_store_2addr_b32 v48, v32, v35 offset0:32 offset1:48
	ds_store_b32 v48, v33 offset:256
	ds_store_2addr_b32 v39, v41, v38 offset1:16
	ds_store_2addr_b32 v39, v40, v11 offset0:32 offset1:48
	ds_store_b32 v39, v37 offset:256
	ds_store_2addr_b32 v29, v31, v46 offset1:16
	ds_store_2addr_b32 v29, v47, v8 offset0:32 offset1:48
	ds_store_b32 v29, v42 offset:256
	s_and_saveexec_b32 s1, s0
	s_cbranch_execz .LBB0_21
; %bb.20:
	v_dual_add_f32 v8, v27, v28 :: v_dual_sub_f32 v31, v50, v51
	v_dual_add_f32 v11, v7, v30 :: v_dual_add_f32 v32, v30, v25
	v_sub_f32_e32 v29, v49, v52
	s_delay_alu instid0(VALU_DEP_3) | instskip(SKIP_1) | instid1(VALU_DEP_4)
	v_fma_f32 v8, -0.5, v8, v7
	v_dual_sub_f32 v33, v30, v27 :: v_dual_sub_f32 v34, v25, v28
	v_add_f32_e32 v11, v11, v27
	v_fmac_f32_e32 v7, -0.5, v32
	v_dual_sub_f32 v27, v27, v30 :: v_dual_sub_f32 v30, v28, v25
	v_fmamk_f32 v32, v29, 0x3f737871, v8
	s_delay_alu instid0(VALU_DEP_4) | instskip(SKIP_1) | instid1(VALU_DEP_3)
	v_dual_fmac_f32 v8, 0xbf737871, v29 :: v_dual_add_f32 v11, v11, v28
	v_add_f32_e32 v33, v33, v34
	v_dual_add_f32 v27, v27, v30 :: v_dual_fmac_f32 v32, 0x3f167918, v31
	s_delay_alu instid0(VALU_DEP_3) | instskip(SKIP_2) | instid1(VALU_DEP_3)
	v_fmac_f32_e32 v8, 0xbf167918, v31
	v_fmamk_f32 v28, v31, 0xbf737871, v7
	v_fmac_f32_e32 v7, 0x3f737871, v31
	v_fmac_f32_e32 v8, 0x3e9e377a, v33
	s_delay_alu instid0(VALU_DEP_3) | instskip(NEXT) | instid1(VALU_DEP_3)
	v_fmac_f32_e32 v28, 0x3f167918, v29
	v_fmac_f32_e32 v7, 0xbf167918, v29
	v_add_f32_e32 v11, v11, v25
	v_fmac_f32_e32 v32, 0x3e9e377a, v33
	v_add_nc_u32_e32 v25, 0x1000, v6
	v_fmac_f32_e32 v28, 0x3e9e377a, v27
	v_fmac_f32_e32 v7, 0x3e9e377a, v27
	ds_store_2addr_b32 v25, v11, v32 offset0:176 offset1:192
	ds_store_2addr_b32 v25, v28, v7 offset0:208 offset1:224
	ds_store_b32 v6, v8 offset:5056
.LBB0_21:
	s_wait_alu 0xfffe
	s_or_b32 exec_lo, exec_lo, s1
	global_wb scope:SCOPE_SE
	s_wait_dscnt 0x0
	s_barrier_signal -1
	s_barrier_wait -1
	global_inv scope:SCOPE_SE
	s_and_saveexec_b32 s0, vcc_lo
	s_cbranch_execz .LBB0_23
; %bb.22:
	v_mul_u32_u24_e32 v7, 15, v45
	v_mul_lo_u32 v11, s3, v4
	v_mad_co_u64_u32 v[55:56], null, s2, v4, 0
	v_mul_lo_u32 v5, s2, v5
	s_delay_alu instid0(VALU_DEP_4)
	v_dual_mov_b32 v4, 0 :: v_dual_lshlrev_b32 v7, 3, v7
	s_clause 0x7
	global_load_b128 v[27:30], v7, s[8:9] offset:512
	global_load_b128 v[31:34], v7, s[8:9] offset:576
	;; [unrolled: 1-line block ×7, first 2 shown]
	global_load_b64 v[7:8], v7, s[8:9] offset:624
	v_add_nc_u32_e32 v25, 0x200, v0
	v_add3_u32 v56, v56, v5, v11
	ds_load_b32 v68, v6 offset:960
	ds_load_b32 v11, v0 offset:4800
	v_add_nc_u32_e32 v59, 0xa00, v0
	ds_load_2addr_b32 v[5:6], v25 offset0:32 offset1:192
	v_lshlrev_b64_e32 v[55:56], 3, v[55:56]
	v_add_nc_u32_e32 v61, 0x400, v0
	v_add_nc_u32_e32 v63, 0x1000, v0
	ds_load_2addr_b32 v[57:58], v0 offset1:80
	v_add_nc_u32_e32 v65, 0x800, v0
	v_add_nc_u32_e32 v67, 0xc00, v0
	v_lshlrev_b64_e32 v[0:1], 3, v[1:2]
	v_add_co_u32 v25, vcc_lo, s6, v55
	s_wait_alu 0xfffd
	v_add_co_ci_u32_e32 v55, vcc_lo, s7, v56, vcc_lo
	v_lshlrev_b64_e32 v[2:3], 3, v[3:4]
	s_delay_alu instid0(VALU_DEP_3) | instskip(SKIP_1) | instid1(VALU_DEP_3)
	v_add_co_u32 v4, vcc_lo, v25, v0
	s_wait_alu 0xfffd
	v_add_co_ci_u32_e32 v25, vcc_lo, v55, v1, vcc_lo
	s_delay_alu instid0(VALU_DEP_2) | instskip(SKIP_1) | instid1(VALU_DEP_2)
	v_add_co_u32 v2, vcc_lo, v4, v2
	s_wait_alu 0xfffd
	v_add_co_ci_u32_e32 v3, vcc_lo, v25, v3, vcc_lo
	s_wait_loadcnt 0x7
	v_mul_f32_e32 v4, v16, v30
	s_wait_dscnt 0x1
	v_mul_f32_e32 v30, v5, v30
	s_wait_loadcnt 0x6
	v_mul_f32_e32 v25, v15, v34
	s_wait_loadcnt 0x4
	v_mul_f32_e32 v56, v23, v41
	v_dual_mul_f32 v55, v21, v37 :: v_dual_mul_f32 v76, v14, v32
	s_wait_loadcnt 0x1
	v_mul_f32_e32 v70, v19, v53
	ds_load_2addr_b32 v[59:60], v59 offset0:80 offset1:160
	ds_load_2addr_b32 v[61:62], v61 offset0:144 offset1:224
	;; [unrolled: 1-line block ×4, first 2 shown]
	s_wait_loadcnt 0x0
	v_mul_f32_e32 v74, v26, v7
	ds_load_2addr_b32 v[0:1], v67 offset0:112 offset1:192
	v_dual_mul_f32 v67, v13, v46 :: v_dual_mul_f32 v78, v22, v39
	v_mul_f32_e32 v69, v17, v49
	v_dual_mul_f32 v21, v21, v38 :: v_dual_mul_f32 v26, v26, v8
	v_mul_f32_e32 v23, v23, v42
	v_mul_f32_e32 v71, v24, v48
	v_dual_mul_f32 v72, v18, v52 :: v_dual_mul_f32 v73, v12, v43
	v_dual_mul_f32 v22, v22, v40 :: v_dual_mul_f32 v77, v20, v35
	;; [unrolled: 1-line block ×3, first 2 shown]
	s_wait_dscnt 0x4
	v_dual_mul_f32 v75, v10, v28 :: v_dual_mul_f32 v34, v60, v34
	v_mul_f32_e32 v12, v12, v44
	s_wait_dscnt 0x2
	v_fmac_f32_e32 v56, v64, v42
	v_mul_f32_e32 v17, v17, v50
	s_wait_dscnt 0x1
	v_mul_f32_e32 v46, v66, v46
	s_wait_dscnt 0x0
	v_mul_f32_e32 v52, v0, v52
	v_mul_f32_e32 v48, v68, v48
	;; [unrolled: 1-line block ×3, first 2 shown]
	v_dual_mul_f32 v32, v59, v32 :: v_dual_fmac_f32 v55, v62, v38
	v_fma_f32 v4, v5, v29, -v4
	v_fma_f32 v5, v60, v33, -v25
	;; [unrolled: 1-line block ×3, first 2 shown]
	v_dual_fmac_f32 v69, v6, v50 :: v_dual_fmac_f32 v30, v16, v29
	s_delay_alu instid0(VALU_DEP_3)
	v_dual_fmac_f32 v70, v1, v54 :: v_dual_sub_f32 v5, v4, v5
	v_fma_f32 v21, v62, v37, -v21
	v_fma_f32 v23, v64, v41, -v23
	v_dual_fmac_f32 v34, v15, v33 :: v_dual_fmac_f32 v73, v65, v44
	v_fma_f32 v15, v68, v47, -v71
	v_fma_f32 v0, v0, v51, -v72
	v_fmac_f32_e32 v74, v11, v8
	v_fma_f32 v6, v6, v49, -v17
	v_fma_f32 v1, v1, v53, -v19
	v_dual_fmac_f32 v46, v13, v45 :: v_dual_sub_f32 v19, v30, v34
	v_fma_f32 v8, v58, v27, -v75
	v_fma_f32 v16, v59, v31, -v76
	v_dual_fmac_f32 v77, v61, v36 :: v_dual_fmac_f32 v48, v24, v47
	v_dual_fmac_f32 v78, v63, v40 :: v_dual_sub_f32 v17, v21, v23
	v_fma_f32 v12, v65, v43, -v12
	v_fma_f32 v7, v11, v7, -v26
	v_fmac_f32_e32 v52, v18, v51
	v_fma_f32 v11, v61, v35, -v20
	v_fma_f32 v18, v63, v39, -v22
	v_sub_f32_e32 v13, v57, v25
	v_dual_sub_f32 v25, v9, v46 :: v_dual_fmac_f32 v28, v10, v27
	v_dual_sub_f32 v23, v48, v52 :: v_dual_fmac_f32 v32, v14, v31
	v_dual_sub_f32 v10, v55, v56 :: v_dual_sub_f32 v7, v12, v7
	v_dual_sub_f32 v14, v69, v70 :: v_dual_sub_f32 v1, v6, v1
	v_sub_f32_e32 v0, v15, v0
	v_dual_sub_f32 v20, v73, v74 :: v_dual_add_f32 v29, v19, v17
	s_delay_alu instid0(VALU_DEP_4) | instskip(NEXT) | instid1(VALU_DEP_4)
	v_dual_sub_f32 v16, v8, v16 :: v_dual_add_f32 v33, v23, v7
	v_sub_f32_e32 v27, v13, v14
	v_add_f32_e32 v35, v25, v1
	s_delay_alu instid0(VALU_DEP_4) | instskip(SKIP_2) | instid1(VALU_DEP_4)
	v_dual_sub_f32 v22, v77, v78 :: v_dual_sub_f32 v31, v0, v20
	v_sub_f32_e32 v24, v28, v32
	v_fma_f32 v20, v73, 2.0, -v20
	v_fmamk_f32 v37, v29, 0x3f3504f3, v35
	v_sub_f32_e32 v26, v5, v10
	v_sub_f32_e32 v18, v11, v18
	v_fma_f32 v36, v57, 2.0, -v13
	v_fma_f32 v1, v6, 2.0, -v1
	;; [unrolled: 1-line block ×7, first 2 shown]
	v_sub_f32_e32 v32, v16, v22
	v_fma_f32 v12, v28, 2.0, -v24
	v_fma_f32 v22, v77, 2.0, -v22
	;; [unrolled: 1-line block ×3, first 2 shown]
	v_sub_f32_e32 v7, v15, v7
	v_fma_f32 v17, v21, 2.0, -v17
	v_fma_f32 v9, v9, 2.0, -v25
	;; [unrolled: 1-line block ×3, first 2 shown]
	v_dual_fmamk_f32 v21, v26, 0x3f3504f3, v27 :: v_dual_add_f32 v34, v24, v18
	v_fma_f32 v11, v11, 2.0, -v18
	v_fma_f32 v18, v48, 2.0, -v23
	v_fmamk_f32 v28, v31, 0x3f3504f3, v32
	v_dual_sub_f32 v38, v36, v1 :: v_dual_sub_f32 v1, v6, v10
	s_delay_alu instid0(VALU_DEP_3)
	v_dual_sub_f32 v10, v8, v11 :: v_dual_sub_f32 v11, v18, v20
	v_sub_f32_e32 v20, v12, v22
	v_sub_f32_e32 v17, v4, v17
	v_fma_f32 v22, v13, 2.0, -v27
	v_fma_f32 v13, v5, 2.0, -v26
	;; [unrolled: 1-line block ×5, first 2 shown]
	v_sub_f32_e32 v14, v9, v14
	v_fma_f32 v25, v25, 2.0, -v35
	v_fmac_f32_e32 v21, 0xbf3504f3, v29
	v_fmamk_f32 v30, v33, 0x3f3504f3, v34
	v_fma_f32 v23, v23, 2.0, -v33
	v_fma_f32 v24, v24, 2.0, -v34
	v_dual_fmac_f32 v37, 0x3f3504f3, v26 :: v_dual_sub_f32 v26, v38, v1
	v_fmamk_f32 v43, v19, 0xbf3504f3, v25
	v_dual_fmac_f32 v30, 0x3f3504f3, v31 :: v_dual_add_f32 v31, v7, v20
	v_sub_f32_e32 v29, v10, v11
	v_fmamk_f32 v41, v39, 0xbf3504f3, v16
	s_delay_alu instid0(VALU_DEP_4) | instskip(SKIP_1) | instid1(VALU_DEP_3)
	v_fmac_f32_e32 v43, 0x3f3504f3, v13
	v_dual_fmac_f32 v28, 0xbf3504f3, v33 :: v_dual_add_f32 v33, v17, v14
	v_dual_fmamk_f32 v40, v13, 0xbf3504f3, v22 :: v_dual_fmac_f32 v41, 0xbf3504f3, v23
	v_fma_f32 v36, v36, 2.0, -v38
	v_fma_f32 v17, v4, 2.0, -v17
	;; [unrolled: 1-line block ×8, first 2 shown]
	v_fmamk_f32 v42, v23, 0xbf3504f3, v24
	v_dual_fmamk_f32 v0, v30, 0x3f6c835e, v37 :: v_dual_sub_f32 v15, v44, v11
	v_dual_fmamk_f32 v5, v29, 0x3f3504f3, v26 :: v_dual_fmamk_f32 v4, v31, 0x3f3504f3, v33
	v_dual_fmac_f32 v40, 0xbf3504f3, v19 :: v_dual_sub_f32 v23, v18, v6
	v_sub_f32_e32 v19, v36, v17
	s_delay_alu instid0(VALU_DEP_4) | instskip(SKIP_3) | instid1(VALU_DEP_4)
	v_dual_sub_f32 v17, v45, v7 :: v_dual_fmac_f32 v0, 0x3ec3ef15, v28
	v_fmamk_f32 v1, v28, 0x3f6c835e, v21
	v_fma_f32 v38, v38, 2.0, -v26
	v_fma_f32 v20, v20, 2.0, -v31
	v_add_f32_e32 v8, v23, v17
	v_fma_f32 v46, v14, 2.0, -v33
	v_fmac_f32_e32 v5, 0xbf3504f3, v31
	v_fma_f32 v47, v22, 2.0, -v40
	v_fma_f32 v31, v36, 2.0, -v19
	;; [unrolled: 1-line block ×3, first 2 shown]
	v_fmamk_f32 v12, v20, 0xbf3504f3, v46
	v_fmac_f32_e32 v42, 0x3f3504f3, v39
	v_fma_f32 v39, v10, 2.0, -v29
	v_fma_f32 v27, v27, 2.0, -v21
	;; [unrolled: 1-line block ×5, first 2 shown]
	v_fmamk_f32 v13, v39, 0xbf3504f3, v38
	v_fma_f32 v28, v16, 2.0, -v41
	v_fma_f32 v48, v25, 2.0, -v43
	;; [unrolled: 1-line block ×3, first 2 shown]
	v_fmac_f32_e32 v1, 0xbec3ef15, v30
	v_fma_f32 v18, v23, 2.0, -v8
	v_sub_f32_e32 v23, v31, v22
	v_dual_fmamk_f32 v7, v41, 0x3ec3ef15, v40 :: v_dual_fmamk_f32 v6, v42, 0x3ec3ef15, v43
	v_fma_f32 v30, v24, 2.0, -v42
	v_fma_f32 v24, v44, 2.0, -v15
	v_dual_fmac_f32 v4, 0x3f3504f3, v29 :: v_dual_sub_f32 v9, v19, v15
	v_fmamk_f32 v11, v32, 0xbec3ef15, v27
	v_fmamk_f32 v10, v34, 0xbec3ef15, v35
	v_fmac_f32_e32 v7, 0xbf6c835e, v42
	v_fmac_f32_e32 v13, 0xbf3504f3, v20
	v_fmamk_f32 v20, v30, 0xbf6c835e, v48
	v_sub_f32_e32 v22, v36, v24
	v_fma_f32 v15, v21, 2.0, -v1
	v_fmamk_f32 v21, v28, 0xbf6c835e, v47
	v_fmac_f32_e32 v6, 0x3f6c835e, v41
	v_fma_f32 v19, v19, 2.0, -v9
	v_fmac_f32_e32 v11, 0xbf6c835e, v34
	v_fmac_f32_e32 v10, 0x3f6c835e, v32
	;; [unrolled: 1-line block ×5, first 2 shown]
	v_fma_f32 v25, v40, 2.0, -v7
	v_fma_f32 v24, v43, 2.0, -v6
	;; [unrolled: 1-line block ×13, first 2 shown]
	s_clause 0xf
	global_store_b64 v[2:3], v[18:19], off offset:2560
	global_store_b64 v[2:3], v[24:25], off offset:3200
	;; [unrolled: 1-line block ×8, first 2 shown]
	global_store_b64 v[2:3], v[30:31], off
	global_store_b64 v[2:3], v[32:33], off offset:640
	global_store_b64 v[2:3], v[28:29], off offset:1280
	;; [unrolled: 1-line block ×7, first 2 shown]
.LBB0_23:
	s_nop 0
	s_sendmsg sendmsg(MSG_DEALLOC_VGPRS)
	s_endpgm
	.section	.rodata,"a",@progbits
	.p2align	6, 0x0
	.amdhsa_kernel fft_rtc_back_len1280_factors_16_5_16_wgs_80_tpt_80_halfLds_sp_op_CI_CI_unitstride_sbrr_dirReg
		.amdhsa_group_segment_fixed_size 0
		.amdhsa_private_segment_fixed_size 0
		.amdhsa_kernarg_size 104
		.amdhsa_user_sgpr_count 2
		.amdhsa_user_sgpr_dispatch_ptr 0
		.amdhsa_user_sgpr_queue_ptr 0
		.amdhsa_user_sgpr_kernarg_segment_ptr 1
		.amdhsa_user_sgpr_dispatch_id 0
		.amdhsa_user_sgpr_private_segment_size 0
		.amdhsa_wavefront_size32 1
		.amdhsa_uses_dynamic_stack 0
		.amdhsa_enable_private_segment 0
		.amdhsa_system_sgpr_workgroup_id_x 1
		.amdhsa_system_sgpr_workgroup_id_y 0
		.amdhsa_system_sgpr_workgroup_id_z 0
		.amdhsa_system_sgpr_workgroup_info 0
		.amdhsa_system_vgpr_workitem_id 0
		.amdhsa_next_free_vgpr 92
		.amdhsa_next_free_sgpr 39
		.amdhsa_reserve_vcc 1
		.amdhsa_float_round_mode_32 0
		.amdhsa_float_round_mode_16_64 0
		.amdhsa_float_denorm_mode_32 3
		.amdhsa_float_denorm_mode_16_64 3
		.amdhsa_fp16_overflow 0
		.amdhsa_workgroup_processor_mode 1
		.amdhsa_memory_ordered 1
		.amdhsa_forward_progress 0
		.amdhsa_round_robin_scheduling 0
		.amdhsa_exception_fp_ieee_invalid_op 0
		.amdhsa_exception_fp_denorm_src 0
		.amdhsa_exception_fp_ieee_div_zero 0
		.amdhsa_exception_fp_ieee_overflow 0
		.amdhsa_exception_fp_ieee_underflow 0
		.amdhsa_exception_fp_ieee_inexact 0
		.amdhsa_exception_int_div_zero 0
	.end_amdhsa_kernel
	.text
.Lfunc_end0:
	.size	fft_rtc_back_len1280_factors_16_5_16_wgs_80_tpt_80_halfLds_sp_op_CI_CI_unitstride_sbrr_dirReg, .Lfunc_end0-fft_rtc_back_len1280_factors_16_5_16_wgs_80_tpt_80_halfLds_sp_op_CI_CI_unitstride_sbrr_dirReg
                                        ; -- End function
	.section	.AMDGPU.csdata,"",@progbits
; Kernel info:
; codeLenInByte = 7764
; NumSgprs: 41
; NumVgprs: 92
; ScratchSize: 0
; MemoryBound: 0
; FloatMode: 240
; IeeeMode: 1
; LDSByteSize: 0 bytes/workgroup (compile time only)
; SGPRBlocks: 5
; VGPRBlocks: 11
; NumSGPRsForWavesPerEU: 41
; NumVGPRsForWavesPerEU: 92
; Occupancy: 16
; WaveLimiterHint : 1
; COMPUTE_PGM_RSRC2:SCRATCH_EN: 0
; COMPUTE_PGM_RSRC2:USER_SGPR: 2
; COMPUTE_PGM_RSRC2:TRAP_HANDLER: 0
; COMPUTE_PGM_RSRC2:TGID_X_EN: 1
; COMPUTE_PGM_RSRC2:TGID_Y_EN: 0
; COMPUTE_PGM_RSRC2:TGID_Z_EN: 0
; COMPUTE_PGM_RSRC2:TIDIG_COMP_CNT: 0
	.text
	.p2alignl 7, 3214868480
	.fill 96, 4, 3214868480
	.type	__hip_cuid_333c16b2152c1108,@object ; @__hip_cuid_333c16b2152c1108
	.section	.bss,"aw",@nobits
	.globl	__hip_cuid_333c16b2152c1108
__hip_cuid_333c16b2152c1108:
	.byte	0                               ; 0x0
	.size	__hip_cuid_333c16b2152c1108, 1

	.ident	"AMD clang version 19.0.0git (https://github.com/RadeonOpenCompute/llvm-project roc-6.4.0 25133 c7fe45cf4b819c5991fe208aaa96edf142730f1d)"
	.section	".note.GNU-stack","",@progbits
	.addrsig
	.addrsig_sym __hip_cuid_333c16b2152c1108
	.amdgpu_metadata
---
amdhsa.kernels:
  - .args:
      - .actual_access:  read_only
        .address_space:  global
        .offset:         0
        .size:           8
        .value_kind:     global_buffer
      - .offset:         8
        .size:           8
        .value_kind:     by_value
      - .actual_access:  read_only
        .address_space:  global
        .offset:         16
        .size:           8
        .value_kind:     global_buffer
      - .actual_access:  read_only
        .address_space:  global
        .offset:         24
        .size:           8
        .value_kind:     global_buffer
      - .actual_access:  read_only
        .address_space:  global
        .offset:         32
        .size:           8
        .value_kind:     global_buffer
      - .offset:         40
        .size:           8
        .value_kind:     by_value
      - .actual_access:  read_only
        .address_space:  global
        .offset:         48
        .size:           8
        .value_kind:     global_buffer
      - .actual_access:  read_only
        .address_space:  global
        .offset:         56
        .size:           8
        .value_kind:     global_buffer
      - .offset:         64
        .size:           4
        .value_kind:     by_value
      - .actual_access:  read_only
        .address_space:  global
        .offset:         72
        .size:           8
        .value_kind:     global_buffer
      - .actual_access:  read_only
        .address_space:  global
        .offset:         80
        .size:           8
        .value_kind:     global_buffer
      - .actual_access:  read_only
        .address_space:  global
        .offset:         88
        .size:           8
        .value_kind:     global_buffer
      - .actual_access:  write_only
        .address_space:  global
        .offset:         96
        .size:           8
        .value_kind:     global_buffer
    .group_segment_fixed_size: 0
    .kernarg_segment_align: 8
    .kernarg_segment_size: 104
    .language:       OpenCL C
    .language_version:
      - 2
      - 0
    .max_flat_workgroup_size: 80
    .name:           fft_rtc_back_len1280_factors_16_5_16_wgs_80_tpt_80_halfLds_sp_op_CI_CI_unitstride_sbrr_dirReg
    .private_segment_fixed_size: 0
    .sgpr_count:     41
    .sgpr_spill_count: 0
    .symbol:         fft_rtc_back_len1280_factors_16_5_16_wgs_80_tpt_80_halfLds_sp_op_CI_CI_unitstride_sbrr_dirReg.kd
    .uniform_work_group_size: 1
    .uses_dynamic_stack: false
    .vgpr_count:     92
    .vgpr_spill_count: 0
    .wavefront_size: 32
    .workgroup_processor_mode: 1
amdhsa.target:   amdgcn-amd-amdhsa--gfx1201
amdhsa.version:
  - 1
  - 2
...

	.end_amdgpu_metadata
